;; amdgpu-corpus repo=ROCm/rocFFT kind=compiled arch=gfx1030 opt=O3
	.text
	.amdgcn_target "amdgcn-amd-amdhsa--gfx1030"
	.amdhsa_code_object_version 6
	.protected	fft_rtc_back_len1122_factors_17_11_6_wgs_204_tpt_102_halfLds_half_ip_CI_unitstride_sbrr_dirReg ; -- Begin function fft_rtc_back_len1122_factors_17_11_6_wgs_204_tpt_102_halfLds_half_ip_CI_unitstride_sbrr_dirReg
	.globl	fft_rtc_back_len1122_factors_17_11_6_wgs_204_tpt_102_halfLds_half_ip_CI_unitstride_sbrr_dirReg
	.p2align	8
	.type	fft_rtc_back_len1122_factors_17_11_6_wgs_204_tpt_102_halfLds_half_ip_CI_unitstride_sbrr_dirReg,@function
fft_rtc_back_len1122_factors_17_11_6_wgs_204_tpt_102_halfLds_half_ip_CI_unitstride_sbrr_dirReg: ; @fft_rtc_back_len1122_factors_17_11_6_wgs_204_tpt_102_halfLds_half_ip_CI_unitstride_sbrr_dirReg
; %bb.0:
	s_clause 0x2
	s_load_dwordx4 s[8:11], s[4:5], 0x0
	s_load_dwordx2 s[2:3], s[4:5], 0x50
	s_load_dwordx2 s[12:13], s[4:5], 0x18
	v_mul_u32_u24_e32 v1, 0x283, v0
	v_mov_b32_e32 v3, 0
	v_lshrrev_b32_e32 v54, 16, v1
	v_mov_b32_e32 v1, 0
	v_mov_b32_e32 v6, v3
	v_mov_b32_e32 v2, 0
	v_lshl_add_u32 v5, s6, 1, v54
	s_waitcnt lgkmcnt(0)
	v_cmp_lt_u64_e64 s0, s[10:11], 2
	s_and_b32 vcc_lo, exec_lo, s0
	s_cbranch_vccnz .LBB0_8
; %bb.1:
	s_load_dwordx2 s[0:1], s[4:5], 0x10
	v_mov_b32_e32 v1, 0
	s_add_u32 s6, s12, 8
	v_mov_b32_e32 v2, 0
	s_addc_u32 s7, s13, 0
	s_mov_b64 s[16:17], 1
	s_waitcnt lgkmcnt(0)
	s_add_u32 s14, s0, 8
	s_addc_u32 s15, s1, 0
.LBB0_2:                                ; =>This Inner Loop Header: Depth=1
	s_load_dwordx2 s[18:19], s[14:15], 0x0
                                        ; implicit-def: $vgpr7_vgpr8
	s_mov_b32 s0, exec_lo
	s_waitcnt lgkmcnt(0)
	v_or_b32_e32 v4, s19, v6
	v_cmpx_ne_u64_e32 0, v[3:4]
	s_xor_b32 s1, exec_lo, s0
	s_cbranch_execz .LBB0_4
; %bb.3:                                ;   in Loop: Header=BB0_2 Depth=1
	v_cvt_f32_u32_e32 v4, s18
	v_cvt_f32_u32_e32 v7, s19
	s_sub_u32 s0, 0, s18
	s_subb_u32 s20, 0, s19
	v_fmac_f32_e32 v4, 0x4f800000, v7
	v_rcp_f32_e32 v4, v4
	v_mul_f32_e32 v4, 0x5f7ffffc, v4
	v_mul_f32_e32 v7, 0x2f800000, v4
	v_trunc_f32_e32 v7, v7
	v_fmac_f32_e32 v4, 0xcf800000, v7
	v_cvt_u32_f32_e32 v7, v7
	v_cvt_u32_f32_e32 v4, v4
	v_mul_lo_u32 v8, s0, v7
	v_mul_hi_u32 v9, s0, v4
	v_mul_lo_u32 v10, s20, v4
	v_add_nc_u32_e32 v8, v9, v8
	v_mul_lo_u32 v9, s0, v4
	v_add_nc_u32_e32 v8, v8, v10
	v_mul_hi_u32 v10, v4, v9
	v_mul_lo_u32 v11, v4, v8
	v_mul_hi_u32 v12, v4, v8
	v_mul_hi_u32 v13, v7, v9
	v_mul_lo_u32 v9, v7, v9
	v_mul_hi_u32 v14, v7, v8
	v_mul_lo_u32 v8, v7, v8
	v_add_co_u32 v10, vcc_lo, v10, v11
	v_add_co_ci_u32_e32 v11, vcc_lo, 0, v12, vcc_lo
	v_add_co_u32 v9, vcc_lo, v10, v9
	v_add_co_ci_u32_e32 v9, vcc_lo, v11, v13, vcc_lo
	v_add_co_ci_u32_e32 v10, vcc_lo, 0, v14, vcc_lo
	v_add_co_u32 v8, vcc_lo, v9, v8
	v_add_co_ci_u32_e32 v9, vcc_lo, 0, v10, vcc_lo
	v_add_co_u32 v4, vcc_lo, v4, v8
	v_add_co_ci_u32_e32 v7, vcc_lo, v7, v9, vcc_lo
	v_mul_hi_u32 v8, s0, v4
	v_mul_lo_u32 v10, s20, v4
	v_mul_lo_u32 v9, s0, v7
	v_add_nc_u32_e32 v8, v8, v9
	v_mul_lo_u32 v9, s0, v4
	v_add_nc_u32_e32 v8, v8, v10
	v_mul_hi_u32 v10, v4, v9
	v_mul_lo_u32 v11, v4, v8
	v_mul_hi_u32 v12, v4, v8
	v_mul_hi_u32 v13, v7, v9
	v_mul_lo_u32 v9, v7, v9
	v_mul_hi_u32 v14, v7, v8
	v_mul_lo_u32 v8, v7, v8
	v_add_co_u32 v10, vcc_lo, v10, v11
	v_add_co_ci_u32_e32 v11, vcc_lo, 0, v12, vcc_lo
	v_add_co_u32 v9, vcc_lo, v10, v9
	v_add_co_ci_u32_e32 v9, vcc_lo, v11, v13, vcc_lo
	v_add_co_ci_u32_e32 v10, vcc_lo, 0, v14, vcc_lo
	v_add_co_u32 v8, vcc_lo, v9, v8
	v_add_co_ci_u32_e32 v9, vcc_lo, 0, v10, vcc_lo
	v_add_co_u32 v4, vcc_lo, v4, v8
	v_add_co_ci_u32_e32 v11, vcc_lo, v7, v9, vcc_lo
	v_mul_hi_u32 v13, v5, v4
	v_mad_u64_u32 v[9:10], null, v6, v4, 0
	v_mad_u64_u32 v[7:8], null, v5, v11, 0
	;; [unrolled: 1-line block ×3, first 2 shown]
	v_add_co_u32 v4, vcc_lo, v13, v7
	v_add_co_ci_u32_e32 v7, vcc_lo, 0, v8, vcc_lo
	v_add_co_u32 v4, vcc_lo, v4, v9
	v_add_co_ci_u32_e32 v4, vcc_lo, v7, v10, vcc_lo
	v_add_co_ci_u32_e32 v7, vcc_lo, 0, v12, vcc_lo
	v_add_co_u32 v4, vcc_lo, v4, v11
	v_add_co_ci_u32_e32 v9, vcc_lo, 0, v7, vcc_lo
	v_mul_lo_u32 v10, s19, v4
	v_mad_u64_u32 v[7:8], null, s18, v4, 0
	v_mul_lo_u32 v11, s18, v9
	v_sub_co_u32 v7, vcc_lo, v5, v7
	v_add3_u32 v8, v8, v11, v10
	v_sub_nc_u32_e32 v10, v6, v8
	v_subrev_co_ci_u32_e64 v10, s0, s19, v10, vcc_lo
	v_add_co_u32 v11, s0, v4, 2
	v_add_co_ci_u32_e64 v12, s0, 0, v9, s0
	v_sub_co_u32 v13, s0, v7, s18
	v_sub_co_ci_u32_e32 v8, vcc_lo, v6, v8, vcc_lo
	v_subrev_co_ci_u32_e64 v10, s0, 0, v10, s0
	v_cmp_le_u32_e32 vcc_lo, s18, v13
	v_cmp_eq_u32_e64 s0, s19, v8
	v_cndmask_b32_e64 v13, 0, -1, vcc_lo
	v_cmp_le_u32_e32 vcc_lo, s19, v10
	v_cndmask_b32_e64 v14, 0, -1, vcc_lo
	v_cmp_le_u32_e32 vcc_lo, s18, v7
	;; [unrolled: 2-line block ×3, first 2 shown]
	v_cndmask_b32_e64 v15, 0, -1, vcc_lo
	v_cmp_eq_u32_e32 vcc_lo, s19, v10
	v_cndmask_b32_e64 v7, v15, v7, s0
	v_cndmask_b32_e32 v10, v14, v13, vcc_lo
	v_add_co_u32 v13, vcc_lo, v4, 1
	v_add_co_ci_u32_e32 v14, vcc_lo, 0, v9, vcc_lo
	v_cmp_ne_u32_e32 vcc_lo, 0, v10
	v_cndmask_b32_e32 v8, v14, v12, vcc_lo
	v_cndmask_b32_e32 v10, v13, v11, vcc_lo
	v_cmp_ne_u32_e32 vcc_lo, 0, v7
	v_cndmask_b32_e32 v8, v9, v8, vcc_lo
	v_cndmask_b32_e32 v7, v4, v10, vcc_lo
.LBB0_4:                                ;   in Loop: Header=BB0_2 Depth=1
	s_andn2_saveexec_b32 s0, s1
	s_cbranch_execz .LBB0_6
; %bb.5:                                ;   in Loop: Header=BB0_2 Depth=1
	v_cvt_f32_u32_e32 v4, s18
	s_sub_i32 s1, 0, s18
	v_rcp_iflag_f32_e32 v4, v4
	v_mul_f32_e32 v4, 0x4f7ffffe, v4
	v_cvt_u32_f32_e32 v4, v4
	v_mul_lo_u32 v7, s1, v4
	v_mul_hi_u32 v7, v4, v7
	v_add_nc_u32_e32 v4, v4, v7
	v_mul_hi_u32 v4, v5, v4
	v_mul_lo_u32 v7, v4, s18
	v_add_nc_u32_e32 v8, 1, v4
	v_sub_nc_u32_e32 v7, v5, v7
	v_subrev_nc_u32_e32 v9, s18, v7
	v_cmp_le_u32_e32 vcc_lo, s18, v7
	v_cndmask_b32_e32 v7, v7, v9, vcc_lo
	v_cndmask_b32_e32 v4, v4, v8, vcc_lo
	v_cmp_le_u32_e32 vcc_lo, s18, v7
	v_add_nc_u32_e32 v8, 1, v4
	v_cndmask_b32_e32 v7, v4, v8, vcc_lo
	v_mov_b32_e32 v8, v3
.LBB0_6:                                ;   in Loop: Header=BB0_2 Depth=1
	s_or_b32 exec_lo, exec_lo, s0
	s_load_dwordx2 s[0:1], s[6:7], 0x0
	v_mul_lo_u32 v4, v8, s18
	v_mul_lo_u32 v11, v7, s19
	v_mad_u64_u32 v[9:10], null, v7, s18, 0
	s_add_u32 s16, s16, 1
	s_addc_u32 s17, s17, 0
	s_add_u32 s6, s6, 8
	s_addc_u32 s7, s7, 0
	;; [unrolled: 2-line block ×3, first 2 shown]
	v_add3_u32 v4, v10, v11, v4
	v_sub_co_u32 v5, vcc_lo, v5, v9
	v_sub_co_ci_u32_e32 v4, vcc_lo, v6, v4, vcc_lo
	s_waitcnt lgkmcnt(0)
	v_mul_lo_u32 v6, s1, v5
	v_mul_lo_u32 v4, s0, v4
	v_mad_u64_u32 v[1:2], null, s0, v5, v[1:2]
	v_cmp_ge_u64_e64 s0, s[16:17], s[10:11]
	s_and_b32 vcc_lo, exec_lo, s0
	v_add3_u32 v2, v6, v2, v4
	s_cbranch_vccnz .LBB0_9
; %bb.7:                                ;   in Loop: Header=BB0_2 Depth=1
	v_mov_b32_e32 v5, v7
	v_mov_b32_e32 v6, v8
	s_branch .LBB0_2
.LBB0_8:
	v_mov_b32_e32 v8, v6
	v_mov_b32_e32 v7, v5
.LBB0_9:
	s_lshl_b64 s[0:1], s[10:11], 3
	v_mul_hi_u32 v3, 0x2828283, v0
	s_add_u32 s0, s12, s0
	s_addc_u32 s1, s13, s1
	v_mov_b32_e32 v16, 0
	s_load_dwordx2 s[0:1], s[0:1], 0x0
	s_load_dwordx2 s[4:5], s[4:5], 0x20
	v_mov_b32_e32 v32, 0
                                        ; implicit-def: $vgpr21
                                        ; implicit-def: $vgpr27
                                        ; implicit-def: $vgpr20
                                        ; implicit-def: $vgpr28
                                        ; implicit-def: $vgpr19
                                        ; implicit-def: $vgpr22
                                        ; implicit-def: $vgpr18
                                        ; implicit-def: $vgpr26
                                        ; implicit-def: $vgpr17
                                        ; implicit-def: $vgpr23
                                        ; implicit-def: $vgpr15
                                        ; implicit-def: $vgpr24
                                        ; implicit-def: $vgpr14
                                        ; implicit-def: $vgpr25
                                        ; implicit-def: $vgpr12
                                        ; implicit-def: $vgpr29
                                        ; implicit-def: $vgpr38
                                        ; implicit-def: $vgpr37
                                        ; implicit-def: $vgpr36
                                        ; implicit-def: $vgpr35
                                        ; implicit-def: $vgpr9
                                        ; implicit-def: $vgpr34
                                        ; implicit-def: $vgpr10
                                        ; implicit-def: $vgpr33
                                        ; implicit-def: $vgpr11
                                        ; implicit-def: $vgpr31
                                        ; implicit-def: $vgpr13
                                        ; implicit-def: $vgpr30
	v_mul_u32_u24_e32 v3, 0x66, v3
	v_sub_nc_u32_e32 v0, v0, v3
	s_waitcnt lgkmcnt(0)
	v_mul_lo_u32 v4, s0, v8
	v_mul_lo_u32 v5, s1, v7
	v_mad_u64_u32 v[1:2], null, s0, v7, v[1:2]
	v_cmp_gt_u64_e32 vcc_lo, s[4:5], v[7:8]
	v_cmp_gt_u32_e64 s0, 0x42, v0
                                        ; implicit-def: $vgpr7
                                        ; implicit-def: $vgpr8
	s_and_b32 s1, vcc_lo, s0
	v_add3_u32 v2, v5, v2, v4
                                        ; implicit-def: $vgpr4
                                        ; implicit-def: $vgpr5
	v_lshlrev_b64 v[2:3], 2, v[1:2]
	s_and_saveexec_b32 s4, s1
	s_cbranch_execz .LBB0_11
; %bb.10:
	v_mov_b32_e32 v1, 0
	v_lshlrev_b64 v[4:5], 2, v[0:1]
	v_add_co_u32 v1, s1, s2, v2
	v_add_co_ci_u32_e64 v6, s1, s3, v3, s1
	v_add_co_u32 v4, s1, v1, v4
	v_add_co_ci_u32_e64 v5, s1, v6, v5, s1
	s_clause 0x7
	global_load_dword v32, v[4:5], off
	global_load_dword v27, v[4:5], off offset:264
	global_load_dword v28, v[4:5], off offset:528
	;; [unrolled: 1-line block ×7, first 2 shown]
	v_add_co_u32 v6, s1, 0x800, v4
	v_add_co_ci_u32_e64 v7, s1, 0, v5, s1
	v_add_co_u32 v4, s1, 0x1000, v4
	v_add_co_ci_u32_e64 v5, s1, 0, v5, s1
	s_clause 0x8
	global_load_dword v29, v[6:7], off offset:64
	global_load_dword v30, v[6:7], off offset:328
	;; [unrolled: 1-line block ×9, first 2 shown]
	s_waitcnt vmcnt(16)
	v_lshrrev_b32_e32 v16, 16, v32
	s_waitcnt vmcnt(15)
	v_lshrrev_b32_e32 v21, 16, v27
	s_waitcnt vmcnt(14)
	v_lshrrev_b32_e32 v20, 16, v28
	s_waitcnt vmcnt(13)
	v_lshrrev_b32_e32 v19, 16, v22
	s_waitcnt vmcnt(12)
	v_lshrrev_b32_e32 v18, 16, v26
	s_waitcnt vmcnt(11)
	v_lshrrev_b32_e32 v17, 16, v23
	s_waitcnt vmcnt(10)
	v_lshrrev_b32_e32 v15, 16, v24
	s_waitcnt vmcnt(9)
	v_lshrrev_b32_e32 v14, 16, v25
	s_waitcnt vmcnt(8)
	v_lshrrev_b32_e32 v12, 16, v29
	s_waitcnt vmcnt(7)
	v_lshrrev_b32_e32 v13, 16, v30
	s_waitcnt vmcnt(6)
	v_lshrrev_b32_e32 v11, 16, v31
	s_waitcnt vmcnt(5)
	v_lshrrev_b32_e32 v10, 16, v33
	s_waitcnt vmcnt(4)
	v_lshrrev_b32_e32 v9, 16, v34
	s_waitcnt vmcnt(3)
	v_lshrrev_b32_e32 v8, 16, v35
	s_waitcnt vmcnt(2)
	v_lshrrev_b32_e32 v7, 16, v36
	s_waitcnt vmcnt(1)
	v_lshrrev_b32_e32 v5, 16, v37
	s_waitcnt vmcnt(0)
	v_lshrrev_b32_e32 v4, 16, v38
.LBB0_11:
	s_or_b32 exec_lo, exec_lo, s4
	v_sub_f16_e32 v55, v21, v4
	v_add_f16_e32 v48, v27, v38
	v_sub_f16_e32 v52, v20, v5
	v_add_f16_e32 v39, v28, v37
	v_sub_f16_e32 v41, v19, v7
	v_mul_f16_e32 v63, 0xba62, v55
	v_add_f16_e32 v40, v22, v36
	v_mul_f16_e32 v64, 0x3bb2, v52
	v_sub_f16_e32 v43, v18, v8
	v_mul_f16_e32 v62, 0xb5c8, v41
	v_fma_f16 v1, v48, 0xb8d2, -v63
	v_add_f16_e32 v42, v26, v35
	v_fma_f16 v6, v39, 0xb461, -v64
	v_sub_f16_e32 v45, v17, v9
	v_mul_f16_e32 v61, 0xb836, v43
	v_add_f16_e32 v1, v32, v1
	v_fma_f16 v46, v40, 0x3b76, -v62
	v_add_f16_e32 v44, v23, v34
	v_sub_f16_e32 v49, v15, v10
	v_mul_f16_e32 v60, 0x3bf7, v45
	v_add_f16_e32 v1, v1, v6
	v_fma_f16 v6, v42, 0xbacd, -v61
	v_add_f16_e32 v47, v24, v33
	v_mul_f16_e32 v59, 0xb964, v49
	v_fma_f16 v51, v44, 0x2de8, -v60
	v_add_f16_e32 v1, v1, v46
	v_sub_f16_e32 v50, v14, v11
	v_add_f16_e32 v46, v25, v31
	v_sub_f16_e32 v53, v12, v13
	v_add_f16_e32 v1, v1, v6
	v_fma_f16 v6, v47, 0x39e9, -v59
	v_mul_f16_e32 v58, 0xb1e1, v50
	v_mul_f16_e32 v57, 0x3b29, v53
	v_add_f16_e32 v1, v1, v51
	v_add_f16_e32 v51, v29, v30
	v_fma_f16 v56, v46, 0xbbdd, -v58
	v_add_f16_e32 v1, v1, v6
	v_and_b32_e32 v6, 1, v54
	v_fma_f16 v54, v51, 0x3722, -v57
	v_add_f16_e32 v1, v1, v56
	v_cmp_eq_u32_e64 s1, 1, v6
	v_add_f16_e32 v6, v1, v54
	v_cndmask_b32_e64 v56, 0, 0x462, s1
	v_lshlrev_b32_e32 v1, 1, v56
	s_and_saveexec_b32 s1, s0
	s_cbranch_execz .LBB0_13
; %bb.12:
	v_pk_mul_f16 v77, 0x2de83722, v48 op_sel_hi:[1,0]
	v_pk_mul_f16 v65, 0x39e93b76, v48 op_sel_hi:[1,0]
	;; [unrolled: 1-line block ×5, first 2 shown]
	v_pk_fma_f16 v81, 0xbbf7bb29, v55, v77 op_sel_hi:[1,0,1]
	v_pk_fma_f16 v66, 0xb964b5c8, v55, v65 op_sel_hi:[1,0,1]
	v_pk_mul_f16 v83, 0xb8d23722, v40 op_sel_hi:[1,0]
	v_pk_fma_f16 v84, 0xbbf7b964, v52, v80 op_sel_hi:[1,0,1]
	v_pk_fma_f16 v85, 0xb1e1ba62, v52, v78 op_sel_hi:[1,0,1]
	v_pk_add_f16 v81, v32, v81 op_sel_hi:[0,1]
	v_pk_add_f16 v66, v32, v66 op_sel_hi:[0,1]
	v_pk_mul_f16 v56, 0x3b76b461, v42 op_sel_hi:[1,0]
	v_pk_mul_f16 v87, 0xbbdd2de8, v42 op_sel_hi:[1,0]
	v_pk_mul_f16 v54, 0x372239e9, v44 op_sel_hi:[1,0]
	v_pk_add_f16 v81, v81, v85
	v_pk_add_f16 v66, v66, v84
	v_pk_fma_f16 v84, 0xba62bb29, v41, v83 op_sel_hi:[1,0,1]
	v_pk_fma_f16 v85, 0x3bb231e1, v41, v79 op_sel_hi:[1,0,1]
	v_pk_mul_f16 v89, 0xbacdb461, v44 op_sel_hi:[1,0]
	v_pk_mul_f16 v82, 0xbacd3b76, v47 op_sel_hi:[1,0]
	;; [unrolled: 1-line block ×3, first 2 shown]
	v_pk_add_f16 v66, v66, v84
	v_pk_fma_f16 v84, 0xb1e1bbf7, v43, v87 op_sel_hi:[1,0,1]
	v_pk_add_f16 v81, v81, v85
	v_pk_fma_f16 v85, 0x35c83bb2, v43, v56 op_sel_hi:[1,0,1]
	v_pk_mul_f16 v86, 0xb8d22de8, v46 op_sel_hi:[1,0]
	v_pk_mul_f16 v91, 0x3722bacd, v46 op_sel_hi:[1,0]
	v_pk_add_f16 v66, v66, v84
	v_pk_fma_f16 v84, 0x3836bbb2, v45, v89 op_sel_hi:[1,0,1]
	v_pk_add_f16 v81, v81, v85
	v_pk_fma_f16 v85, 0xbb293964, v45, v54 op_sel_hi:[1,0,1]
	v_fmamk_f16 v65, v55, 0x35c8, v65
	v_pk_mul_f16 v88, 0x39e9bacd, v51 op_sel_hi:[1,0]
	v_pk_add_f16 v66, v66, v84
	v_pk_fma_f16 v84, 0x3bb2ba62, v49, v90 op_sel_hi:[1,0,1]
	v_pk_add_f16 v81, v81, v85
	v_pk_fma_f16 v85, 0xb836b5c8, v49, v82 op_sel_hi:[1,0,1]
	v_pk_mul_f16 v92, 0x3b76bbdd, v51 op_sel_hi:[1,0]
	v_add_f16_e32 v65, v32, v65
	v_fmamk_f16 v80, v52, 0x3964, v80
	v_pk_add_f16 v66, v66, v84
	v_pk_fma_f16 v84, 0x3b29b836, v50, v91 op_sel_hi:[1,0,1]
	v_pk_add_f16 v81, v81, v85
	v_pk_fma_f16 v85, 0x3a62bbf7, v50, v86 op_sel_hi:[1,0,1]
	v_mul_f16_e32 v67, 0xb8d2, v48
	v_mul_f16_e32 v76, 0xb461, v48
	v_add_f16_e32 v65, v65, v80
	v_fmamk_f16 v80, v41, 0x3b29, v83
	v_pk_add_f16 v66, v66, v84
	v_pk_fma_f16 v83, 0x35c8b1e1, v53, v92 op_sel_hi:[1,0,1]
	v_pk_add_f16 v81, v81, v85
	v_pk_fma_f16 v84, 0x3964b836, v53, v88 op_sel_hi:[1,0,1]
	v_mul_f16_e32 v85, 0xbbb2, v55
	v_mul_f16_e32 v68, 0xb461, v39
	v_add_f16_e32 v80, v65, v80
	v_pk_add_f16 v65, v66, v83
	v_pk_add_f16 v66, v81, v84
	v_mul_f16_e32 v81, 0x3836, v52
	v_mul_f16_e32 v83, 0xbacd, v39
	v_perm_b32 v63, v63, v85, 0x5040100
	v_perm_b32 v67, v67, v76, 0x5040100
	v_mul_f16_e32 v69, 0x3b76, v40
	v_fmamk_f16 v87, v43, 0x3bf7, v87
	v_perm_b32 v64, v64, v81, 0x5040100
	v_perm_b32 v68, v68, v83, 0x5040100
	v_mul_f16_e32 v84, 0x39e9, v40
	v_pk_add_f16 v63, v63, v67
	v_mul_f16_e32 v67, 0x3964, v41
	v_add_f16_e32 v80, v80, v87
	v_fmamk_f16 v87, v45, 0x3bb2, v89
	v_pk_add_f16 v64, v64, v68
	v_pk_add_f16 v63, v32, v63 op_sel_hi:[0,1]
	v_perm_b32 v62, v62, v67, 0x5040100
	v_perm_b32 v69, v69, v84, 0x5040100
	v_mul_f16_e32 v70, 0xbacd, v42
	v_add_f16_e32 v80, v80, v87
	v_mul_f16_e32 v87, 0x3722, v42
	v_pk_add_f16 v63, v63, v64
	v_pk_add_f16 v62, v62, v69
	v_mul_f16_e32 v71, 0x2de8, v44
	v_mul_f16_e32 v68, 0xbb29, v43
	v_perm_b32 v69, v70, v87, 0x5040100
	v_mul_f16_e32 v70, 0xb1e1, v45
	v_pk_add_f16 v62, v63, v62
	v_mul_f16_e32 v63, 0xbbdd, v44
	v_perm_b32 v61, v61, v68, 0x5040100
	v_fmamk_f16 v89, v49, 0x3a62, v90
	v_perm_b32 v60, v60, v70, 0x5040100
	v_mul_f16_e32 v72, 0x39e9, v47
	v_perm_b32 v71, v71, v63, 0x5040100
	v_pk_add_f16 v61, v61, v69
	v_pk_mul_f16 v75, 0xb1e1b836, v55 op_sel_hi:[1,0]
	v_mul_f16_e32 v69, 0x2de8, v47
	v_add_f16_e32 v80, v80, v89
	v_pk_add_f16 v60, v60, v71
	v_add_f16_e32 v71, v32, v27
	v_mul_f16_e32 v89, 0x3bf7, v49
	v_pk_add_f16 v61, v62, v61
	v_fmamk_f16 v90, v50, 0x3836, v91
	v_mul_f16_e32 v73, 0xbbdd, v46
	v_add_f16_e32 v71, v71, v28
	v_pk_mul_f16 v64, 0x35c83b29, v52 op_sel_hi:[1,0]
	v_perm_b32 v59, v59, v89, 0x5040100
	v_perm_b32 v72, v72, v69, 0x5040100
	v_mul_f16_e32 v91, 0x3b76, v46
	v_add_f16_e32 v71, v71, v22
	v_add_f16_e32 v80, v80, v90
	v_mul_f16_e32 v90, 0xb5c8, v50
	v_pk_add_f16 v60, v61, v60
	v_pk_fma_f16 v61, 0xbbddbacd, v48, v75 op_sel_hi:[1,0,1]
	v_add_f16_e32 v71, v71, v26
	v_pk_mul_f16 v62, 0xb836bbf7, v41 op_sel_hi:[1,0]
	v_pk_add_f16 v59, v59, v72
	v_fmamk_f16 v72, v53, 0x31e1, v92
	v_perm_b32 v58, v58, v90, 0x5040100
	v_perm_b32 v73, v73, v91, 0x5040100
	v_pk_add_f16 v61, v32, v61 op_sel_hi:[0,1]
	v_pk_fma_f16 v92, 0x3b763722, v39, v64 op_sel_hi:[1,0,1]
	v_add_f16_e32 v71, v71, v23
	v_pk_add_f16 v59, v60, v59
	v_pk_add_f16 v58, v58, v73
	v_pk_fma_f16 v73, 0xbacd2de8, v40, v62 op_sel_hi:[1,0,1]
	v_pk_add_f16 v61, v61, v92
	v_pk_mul_f16 v92, 0x39643a62, v43 op_sel_hi:[1,0]
	v_add_f16_e32 v71, v71, v24
	v_add_f16_e32 v72, v80, v72
	v_pk_mul_f16 v80, 0xba62b5c8, v45 op_sel_hi:[1,0]
	v_pk_add_f16 v61, v61, v73
	v_pk_fma_f16 v73, 0x39e9b8d2, v42, v92 op_sel_hi:[1,0,1]
	v_pk_add_f16 v58, v59, v58
	v_add_f16_e32 v59, v71, v25
	v_pk_fma_f16 v71, 0xbbddbacd, v48, v75 op_sel_hi:[1,0,1] neg_lo:[0,0,1] neg_hi:[0,0,1]
	v_pk_mul_f16 v75, 0x3b29b1e1, v49 op_sel_hi:[1,0]
	v_pk_add_f16 v61, v61, v73
	v_pk_fma_f16 v73, 0xb8d23b76, v44, v80 op_sel_hi:[1,0,1]
	v_pk_fma_f16 v64, 0x3b763722, v39, v64 op_sel_hi:[1,0,1] neg_lo:[0,0,1] neg_hi:[0,0,1]
	v_pk_add_f16 v71, v32, v71 op_sel_hi:[0,1]
	v_mul_f16_e32 v74, 0x3722, v51
	v_mul_f16_e32 v60, 0xb8d2, v51
	v_pk_add_f16 v61, v61, v73
	v_pk_fma_f16 v73, 0x3722bbdd, v47, v75 op_sel_hi:[1,0,1]
	v_pk_add_f16 v64, v71, v64
	v_pk_mul_f16 v71, 0xbbb23964, v50 op_sel_hi:[1,0]
	v_mul_f16_e32 v93, 0xba62, v53
	v_perm_b32 v74, v74, v60, 0x5040100
	v_pk_add_f16 v61, v61, v73
	v_bfi_b32 v78, 0xffff, v83, v78
	v_pk_fma_f16 v73, 0xb46139e9, v46, v71 op_sel_hi:[1,0,1]
	v_perm_b32 v57, v57, v93, 0x5040100
	v_add_f16_e32 v59, v59, v29
	v_pk_mul_f16 v83, 0x35c83bb2, v43 op_sel_hi:[1,0]
	v_bfi_b32 v79, 0xffff, v84, v79
	v_pk_add_f16 v61, v61, v73
	v_pk_mul_f16 v73, 0xbbf7bb29, v55 op_sel_hi:[1,0]
	v_pk_add_f16 v57, v57, v74
	v_bfi_b32 v74, 0xffff, v76, v77
	v_pk_mul_f16 v76, 0xb1e1ba62, v52 op_sel_hi:[1,0]
	v_pk_mul_f16 v55, 0x39643b29, v55 op_sel_hi:[1,0]
	v_bfi_b32 v73, 0xffff, v85, v73
	v_pk_mul_f16 v77, 0x3bb231e1, v41 op_sel_hi:[1,0]
	v_pk_mul_f16 v52, 0x3bf73a62, v52 op_sel_hi:[1,0]
	v_bfi_b32 v76, 0xffff, v81, v76
	v_pk_fma_f16 v48, 0x39e93722, v48, v55 op_sel_hi:[1,0,1]
	v_pk_add_f16 v73, v74, v73 neg_lo:[0,1] neg_hi:[0,1]
	v_bfi_b32 v67, 0xffff, v67, v77
	v_pk_fma_f16 v39, 0x2de8b8d2, v39, v52 op_sel_hi:[1,0,1]
	v_pk_add_f16 v76, v78, v76 neg_lo:[0,1] neg_hi:[0,1]
	v_pk_mul_f16 v41, 0x3a62b1e1, v41 op_sel_hi:[1,0]
	v_pk_add_f16 v73, v32, v73 op_sel_hi:[0,1]
	v_pk_add_f16 v32, v32, v48 op_sel_hi:[0,1]
	v_add_f16_e32 v59, v59, v30
	v_pk_fma_f16 v62, 0xbacd2de8, v40, v62 op_sel_hi:[1,0,1] neg_lo:[0,0,1] neg_hi:[0,0,1]
	v_pk_mul_f16 v81, 0xbb293964, v45 op_sel_hi:[1,0]
	v_pk_add_f16 v73, v73, v76
	v_pk_add_f16 v67, v79, v67 neg_lo:[0,1] neg_hi:[0,1]
	v_bfi_b32 v56, 0xffff, v87, v56
	v_bfi_b32 v68, 0xffff, v68, v83
	v_pk_add_f16 v32, v32, v39
	v_pk_fma_f16 v39, 0xb8d2bbdd, v40, v41 op_sel_hi:[1,0,1]
	v_pk_mul_f16 v40, 0x31e1bbb2, v43 op_sel_hi:[1,0]
	v_add_f16_e32 v59, v31, v59
	v_pk_add_f16 v62, v64, v62
	v_pk_fma_f16 v64, 0x39e9b8d2, v42, v92 op_sel_hi:[1,0,1] neg_lo:[0,0,1] neg_hi:[0,0,1]
	v_pk_mul_f16 v74, 0xb836b5c8, v49 op_sel_hi:[1,0]
	v_pk_add_f16 v67, v73, v67
	v_pk_add_f16 v56, v56, v68 neg_lo:[0,1] neg_hi:[0,1]
	v_bfi_b32 v48, 0xffff, v63, v54
	v_bfi_b32 v52, 0xffff, v70, v81
	v_pk_add_f16 v32, v32, v39
	v_pk_fma_f16 v39, 0xbbddb461, v42, v40 op_sel_hi:[1,0,1]
	v_pk_mul_f16 v40, 0xb836b964, v45 op_sel_hi:[1,0]
	v_add_f16_e32 v59, v33, v59
	v_pk_add_f16 v62, v62, v64
	v_pk_mul_f16 v78, 0x3a62bbf7, v50 op_sel_hi:[1,0]
	v_pk_fma_f16 v80, 0xb8d23b76, v44, v80 op_sel_hi:[1,0,1] neg_lo:[0,0,1] neg_hi:[0,0,1]
	v_pk_add_f16 v54, v67, v56
	v_pk_add_f16 v41, v48, v52 neg_lo:[0,1] neg_hi:[0,1]
	v_bfi_b32 v43, 0xffff, v69, v82
	v_bfi_b32 v48, 0xffff, v89, v74
	v_pk_add_f16 v32, v32, v39
	v_pk_fma_f16 v39, 0xbacd39e9, v44, v40 op_sel_hi:[1,0,1]
	v_pk_mul_f16 v40, 0xbbb235c8, v49 op_sel_hi:[1,0]
	v_add_f16_e32 v59, v34, v59
	v_pk_mul_f16 v77, 0x3964b836, v53 op_sel_hi:[1,0]
	v_pk_add_f16 v62, v62, v80
	v_pk_fma_f16 v55, 0x3722bbdd, v47, v75 op_sel_hi:[1,0,1] neg_lo:[0,0,1] neg_hi:[0,0,1]
	v_pk_add_f16 v41, v54, v41
	v_pk_add_f16 v43, v43, v48 neg_lo:[0,1] neg_hi:[0,1]
	v_bfi_b32 v44, 0xffff, v91, v86
	v_bfi_b32 v45, 0xffff, v90, v78
	v_pk_add_f16 v32, v32, v39
	v_pk_fma_f16 v39, 0xb4613b76, v47, v40 op_sel_hi:[1,0,1]
	v_pk_mul_f16 v40, 0xbb293bf7, v50 op_sel_hi:[1,0]
	v_add_f16_e32 v59, v35, v59
	v_pk_mul_f16 v64, 0x3bf7bbb2, v53 op_sel_hi:[1,0]
	v_pk_add_f16 v42, v62, v55
	v_pk_add_f16 v41, v41, v43
	v_pk_add_f16 v43, v44, v45 neg_lo:[0,1] neg_hi:[0,1]
	v_bfi_b32 v44, 0xffff, v60, v88
	v_bfi_b32 v45, 0xffff, v93, v77
	v_pk_add_f16 v32, v32, v39
	v_pk_fma_f16 v39, 0x37222de8, v46, v40 op_sel_hi:[1,0,1]
	v_pk_mul_f16 v40, 0xb5c83836, v53 op_sel_hi:[1,0]
	v_pk_fma_f16 v46, 0xb46139e9, v46, v71 op_sel_hi:[1,0,1] neg_lo:[0,0,1] neg_hi:[0,0,1]
	v_add_f16_e32 v59, v36, v59
	v_pk_add_f16 v41, v41, v43
	v_pk_add_f16 v43, v44, v45 neg_lo:[0,1] neg_hi:[0,1]
	v_pk_add_f16 v32, v32, v39
	v_pk_fma_f16 v39, 0x3b76bacd, v51, v40 op_sel_hi:[1,0,1]
	v_pk_add_f16 v40, v42, v46
	v_pk_fma_f16 v42, 0x2de8b461, v51, v64 op_sel_hi:[1,0,1] neg_lo:[0,0,1] neg_hi:[0,0,1]
	v_add_f16_e32 v59, v37, v59
	v_mul_u32_u24_e32 v84, 34, v0
	v_pk_fma_f16 v44, 0x2de8b461, v51, v64 op_sel_hi:[1,0,1]
	v_pk_add_f16 v41, v41, v43
	v_pk_add_f16 v32, v32, v39
	;; [unrolled: 1-line block ×3, first 2 shown]
	v_add_f16_e32 v59, v38, v59
	v_add3_u32 v84, 0, v84, v1
	v_pk_add_f16 v67, v58, v57
	v_pk_add_f16 v68, v61, v44
	v_perm_b32 v40, v41, v6, 0x5040100
	v_alignbit_b32 v41, v32, v41, 16
	v_alignbit_b32 v42, v72, v32, 16
	;; [unrolled: 1-line block ×3, first 2 shown]
	ds_write_b16 v84, v59
	ds_write_b128 v84, v[65:68] offset:2
	ds_write_b128 v84, v[39:42] offset:18
.LBB0_13:
	s_or_b32 exec_lo, exec_lo, s1
	v_sub_f16_e32 v50, v27, v38
	v_add_f16_e32 v45, v21, v4
	v_sub_f16_e32 v49, v28, v37
	v_add_f16_e32 v46, v20, v5
	v_sub_f16_e32 v54, v22, v36
	v_pk_mul_f16 v43, 0xba62bbb2, v50 op_sel_hi:[1,0]
	v_add_f16_e32 v47, v19, v7
	v_pk_mul_f16 v42, 0x3bb23836, v49 op_sel_hi:[1,0]
	v_sub_f16_e32 v53, v26, v35
	v_sub_f16_e32 v56, v23, v34
	v_pk_fma_f16 v22, 0xb8d2b461, v45, v43 op_sel_hi:[1,0,1]
	v_pk_mul_f16 v44, 0xb5c83964, v54 op_sel_hi:[1,0]
	v_pk_fma_f16 v23, 0xb461bacd, v46, v42 op_sel_hi:[1,0,1]
	v_add_f16_e32 v48, v18, v8
	v_sub_f16_e32 v57, v24, v33
	v_pk_add_f16 v22, v16, v22 op_sel_hi:[0,1]
	v_pk_mul_f16 v41, 0xb836bb29, v53 op_sel_hi:[1,0]
	v_pk_fma_f16 v24, 0x3b7639e9, v47, v44 op_sel_hi:[1,0,1]
	v_add_f16_e32 v51, v17, v9
	v_pk_mul_f16 v37, 0x3bf7b1e1, v56 op_sel_hi:[1,0]
	v_pk_add_f16 v22, v22, v23
	v_pk_fma_f16 v23, 0xbacd3722, v48, v41 op_sel_hi:[1,0,1]
	v_sub_f16_e32 v58, v25, v31
	v_sub_f16_e32 v59, v29, v30
	v_pk_fma_f16 v25, 0x2de8bbdd, v51, v37 op_sel_hi:[1,0,1]
	v_pk_add_f16 v22, v22, v24
	v_lshlrev_b32_e32 v24, 1, v0
	s_waitcnt lgkmcnt(0)
	s_barrier
	buffer_gl0_inv
	v_pk_add_f16 v22, v22, v23
	v_add_nc_u32_e32 v36, 0, v24
	v_add3_u32 v23, 0, v1, v24
	v_add_f16_e32 v52, v15, v10
	v_pk_mul_f16 v39, 0xb9643bf7, v57 op_sel_hi:[1,0]
	v_pk_add_f16 v40, v22, v25
	v_add_nc_u32_e32 v22, v36, v1
	v_add_f16_e32 v55, v14, v11
	v_pk_mul_f16 v38, 0xb1e1b5c8, v58 op_sel_hi:[1,0]
	ds_read_u16 v25, v23
	ds_read_u16 v35, v22 offset:204
	ds_read_u16 v34, v22 offset:408
	;; [unrolled: 1-line block ×10, first 2 shown]
	v_pk_fma_f16 v24, 0x39e92de8, v52, v39 op_sel_hi:[1,0,1]
	v_add_f16_e32 v60, v12, v13
	v_pk_fma_f16 v61, 0xbbdd3b76, v55, v38 op_sel_hi:[1,0,1]
	s_waitcnt lgkmcnt(0)
	s_barrier
	v_pk_add_f16 v24, v40, v24
	v_pk_mul_f16 v40, 0x3b29ba62, v59 op_sel_hi:[1,0]
	buffer_gl0_inv
	v_pk_add_f16 v24, v24, v61
	v_pk_fma_f16 v61, 0x3722b8d2, v60, v40 op_sel_hi:[1,0,1]
	v_pk_add_f16 v24, v24, v61
	s_and_saveexec_b32 s1, s0
	s_cbranch_execz .LBB0_15
; %bb.14:
	v_add_f16_e32 v21, v16, v21
	v_pack_b32_f16 v50, v50, v50
	v_pack_b32_f16 v61, v45, v45
	v_perm_b32 v16, v16, v16, 0x5040100
	v_pack_b32_f16 v62, v46, v46
	v_add_f16_e32 v20, v21, v20
	v_pack_b32_f16 v21, v49, v49
	v_pack_b32_f16 v54, v54, v54
	v_pack_b32_f16 v49, v47, v47
	v_pack_b32_f16 v63, v48, v48
	v_add_f16_e32 v19, v20, v19
	v_pack_b32_f16 v20, v53, v53
	v_pack_b32_f16 v53, v51, v51
	v_pack_b32_f16 v64, v52, v52
	;; [unrolled: 5-line block ×3, first 2 shown]
	v_pk_mul_f16 v66, 0xb1e1bbf7, v20
	v_add_f16_e32 v17, v18, v17
	v_pack_b32_f16 v18, v59, v59
	v_pk_mul_f16 v59, 0xbbf7b964, v21
	v_pk_mul_f16 v67, 0x3836bbb2, v56
	v_pk_fma_f16 v71, 0xbbdd2de8, v63, v66 neg_lo:[0,0,1] neg_hi:[0,0,1]
	v_add_f16_e32 v15, v17, v15
	v_pk_mul_f16 v17, 0xbacd3722, v48 op_sel_hi:[1,0]
	v_pk_mul_f16 v48, 0x2de8bbdd, v51 op_sel_hi:[1,0]
	;; [unrolled: 1-line block ×4, first 2 shown]
	v_add_f16_e32 v14, v15, v14
	v_pk_mul_f16 v15, 0xb964b5c8, v50
	v_pk_mul_f16 v55, 0x3722b8d2, v60 op_sel_hi:[1,0]
	v_pk_mul_f16 v60, 0xba62bb29, v54
	v_pk_fma_f16 v68, 0x2de839e9, v62, v59 neg_lo:[0,0,1] neg_hi:[0,0,1]
	v_add_f16_e32 v12, v14, v12
	v_pk_fma_f16 v14, 0x39e93b76, v61, v15 neg_lo:[0,0,1] neg_hi:[0,0,1]
	v_pack_b32_f16 v58, v58, v58
	v_pk_fma_f16 v70, 0xb8d23722, v49, v60 neg_lo:[0,0,1] neg_hi:[0,0,1]
	v_pk_fma_f16 v15, 0x39e93b76, v61, v15
	v_add_f16_e32 v12, v12, v13
	v_pk_add_f16 v13, v16, v14
	v_pk_mul_f16 v14, 0x3bb2ba62, v19
	v_pk_mul_f16 v69, 0x3b29b836, v58
	v_pk_fma_f16 v59, 0x2de839e9, v62, v59
	v_add_f16_e32 v11, v11, v12
	v_pk_add_f16 v12, v13, v68
	v_pk_add_f16 v15, v16, v15
	v_pk_mul_f16 v13, 0x35c8b1e1, v18
	v_pk_mul_f16 v68, 0xbbf7bb29, v50
	v_add_f16_e32 v10, v10, v11
	v_pk_add_f16 v11, v12, v70
	v_pk_fma_f16 v70, 0xbacdb461, v53, v67 neg_lo:[0,0,1] neg_hi:[0,0,1]
	v_pk_fma_f16 v60, 0xb8d23722, v49, v60
	v_pk_add_f16 v15, v15, v59
	v_add_f16_e32 v9, v9, v10
	v_pk_add_f16 v10, v11, v71
	v_pk_fma_f16 v11, 0xb461b8d2, v64, v14 neg_lo:[0,0,1] neg_hi:[0,0,1]
	v_pk_mul_f16 v12, 0xb1e1ba62, v21
	v_pk_add_f16 v15, v15, v60
	v_add_f16_e32 v8, v8, v9
	v_pk_add_f16 v9, v10, v70
	v_pk_fma_f16 v10, 0x3722bacd, v57, v69 neg_lo:[0,0,1] neg_hi:[0,0,1]
	v_pk_mul_f16 v45, 0xb8d2b461, v45 op_sel_hi:[1,0]
	v_pk_mul_f16 v46, 0xb461bacd, v46 op_sel_hi:[1,0]
	v_add_f16_e32 v7, v7, v8
	v_pk_add_f16 v8, v9, v11
	v_pk_fma_f16 v9, 0x3b76bbdd, v65, v13 neg_lo:[0,0,1] neg_hi:[0,0,1]
	v_pk_fma_f16 v11, 0xbbdd2de8, v63, v66
	v_pk_fma_f16 v59, 0x3722bacd, v57, v69
	v_add_f16_e32 v5, v5, v7
	v_pk_add_f16 v7, v8, v10
	v_pk_fma_f16 v8, 0x2de83722, v61, v68 neg_lo:[0,0,1] neg_hi:[0,0,1]
	v_pk_fma_f16 v10, 0xbacdb461, v53, v67
	v_pk_add_f16 v11, v15, v11
	v_add_f16_e32 v4, v4, v5
	v_pk_add_f16 v7, v7, v9
	v_pk_add_f16 v5, v16, v8
	v_pk_fma_f16 v8, 0xbbddb8d2, v62, v12 neg_lo:[0,0,1] neg_hi:[0,0,1]
	v_pk_mul_f16 v9, 0x3bb231e1, v54
	v_pk_add_f16 v10, v11, v10
	v_pk_fma_f16 v11, 0xb461b8d2, v64, v14
	v_pk_fma_f16 v14, 0x2de83722, v61, v68
	v_pk_add_f16 v5, v5, v8
	v_pk_fma_f16 v8, 0xb461bbdd, v49, v9 neg_lo:[0,0,1] neg_hi:[0,0,1]
	v_pk_mul_f16 v15, 0x35c83bb2, v20
	v_pk_add_f16 v10, v10, v11
	v_pk_add_f16 v11, v16, v14
	v_pk_fma_f16 v12, 0xbbddb8d2, v62, v12
	v_pk_add_f16 v5, v5, v8
	v_pk_fma_f16 v8, 0x3b76b461, v63, v15 neg_lo:[0,0,1] neg_hi:[0,0,1]
	v_pk_mul_f16 v14, 0xbb293964, v56
	v_pk_fma_f16 v9, 0xb461bbdd, v49, v9
	v_pk_add_f16 v11, v11, v12
	v_pk_mul_f16 v12, 0xb836b5c8, v19
	v_pk_add_f16 v5, v5, v8
	v_pk_fma_f16 v8, 0x372239e9, v53, v14 neg_lo:[0,0,1] neg_hi:[0,0,1]
	v_pk_mul_f16 v47, 0x3b7639e9, v47 op_sel_hi:[1,0]
	v_pk_add_f16 v9, v11, v9
	v_pk_fma_f16 v11, 0x3b76b461, v63, v15
	v_pk_mul_f16 v15, 0x3a62bbf7, v58
	v_pk_add_f16 v5, v5, v8
	v_pk_fma_f16 v8, 0xbacd3b76, v64, v12 neg_lo:[0,0,1] neg_hi:[0,0,1]
	v_pk_add_f16 v10, v10, v59
	v_pk_add_f16 v9, v9, v11
	v_pk_fma_f16 v11, 0x372239e9, v53, v14
	v_pk_fma_f16 v13, 0x3b76bbdd, v65, v13
	v_pk_add_f16 v5, v5, v8
	v_pk_add_f16 v8, v45, v43 neg_lo:[0,1] neg_hi:[0,1]
	v_pk_fma_f16 v14, 0xb8d22de8, v57, v15 neg_lo:[0,0,1] neg_hi:[0,0,1]
	v_pk_mul_f16 v43, 0x3964b836, v18
	v_pk_add_f16 v9, v9, v11
	v_pk_fma_f16 v11, 0xbacd3b76, v64, v12
	v_pk_add_f16 v8, v16, v8
	v_pk_add_f16 v12, v46, v42 neg_lo:[0,1] neg_hi:[0,1]
	v_pk_add_f16 v5, v5, v14
	v_pk_fma_f16 v14, 0x39e9bacd, v65, v43 neg_lo:[0,0,1] neg_hi:[0,0,1]
	v_pk_add_f16 v9, v9, v11
	v_pk_fma_f16 v11, 0xb8d22de8, v57, v15
	v_pk_add_f16 v12, v8, v12
	v_pk_add_f16 v15, v47, v44 neg_lo:[0,1] neg_hi:[0,1]
	v_pk_add_f16 v42, v10, v13
	v_pk_mul_f16 v10, 0xb1e1b836, v50
	v_pk_add_f16 v8, v5, v14
	v_pk_add_f16 v5, v9, v11
	;; [unrolled: 1-line block ×3, first 2 shown]
	v_pk_add_f16 v11, v17, v41 neg_lo:[0,1] neg_hi:[0,1]
	v_pk_fma_f16 v12, 0xbbddbacd, v61, v10
	v_pk_mul_f16 v13, 0x35c83b29, v21
	v_pk_fma_f16 v10, 0xbbddbacd, v61, v10 neg_lo:[0,0,1] neg_hi:[0,0,1]
	v_pk_mul_f16 v15, 0xb836bbf7, v54
	v_pk_add_f16 v9, v9, v11
	v_pk_add_f16 v11, v16, v12
	v_pk_fma_f16 v12, 0x3b763722, v62, v13
	v_pk_add_f16 v10, v16, v10
	v_pk_fma_f16 v13, 0x3b763722, v62, v13 neg_lo:[0,0,1] neg_hi:[0,0,1]
	v_pk_mul_f16 v17, 0x39643a62, v20
	v_pk_add_f16 v16, v48, v37 neg_lo:[0,1] neg_hi:[0,1]
	v_pk_add_f16 v11, v11, v12
	v_pk_fma_f16 v12, 0xbacd2de8, v49, v15
	v_pk_add_f16 v10, v10, v13
	v_pk_fma_f16 v13, 0xbacd2de8, v49, v15 neg_lo:[0,0,1] neg_hi:[0,0,1]
	v_pk_mul_f16 v15, 0xba62b5c8, v56
	v_pk_add_f16 v9, v9, v16
	v_pk_add_f16 v11, v11, v12
	v_pk_fma_f16 v12, 0x39e9b8d2, v63, v17
	v_pk_add_f16 v10, v10, v13
	v_pk_fma_f16 v13, 0x39e9b8d2, v63, v17 neg_lo:[0,0,1] neg_hi:[0,0,1]
	v_pk_mul_f16 v17, 0x3b29b1e1, v19
	v_pk_add_f16 v16, v51, v39 neg_lo:[0,1] neg_hi:[0,1]
	v_pk_add_f16 v11, v11, v12
	v_pk_fma_f16 v12, 0xb8d23b76, v53, v15
	v_pk_add_f16 v10, v10, v13
	;; [unrolled: 12-line block ×3, first 2 shown]
	v_pk_fma_f16 v13, 0xb46139e9, v57, v15 neg_lo:[0,0,1] neg_hi:[0,0,1]
	v_pk_fma_f16 v14, 0x39e9bacd, v65, v43
	v_pk_add_f16 v9, v9, v16
	v_pk_add_f16 v11, v11, v12
	v_pk_fma_f16 v12, 0x2de8b461, v65, v17
	v_pk_add_f16 v15, v55, v40 neg_lo:[0,1] neg_hi:[0,1]
	v_lshlrev_b32_e32 v16, 5, v0
	v_pk_add_f16 v10, v10, v13
	v_pk_fma_f16 v13, 0x2de8b461, v65, v17 neg_lo:[0,0,1] neg_hi:[0,0,1]
	v_pk_add_f16 v11, v11, v12
	v_pk_add_f16 v5, v5, v14
	;; [unrolled: 1-line block ×3, first 2 shown]
	v_add3_u32 v15, v36, v16, v1
	v_pk_add_f16 v10, v10, v13
	v_alignbit_b32 v11, v11, v11, 16
	v_alignbit_b32 v12, v24, v24, 16
	;; [unrolled: 1-line block ×4, first 2 shown]
	ds_write_b16 v15, v4
	ds_write_b128 v15, v[7:10] offset:2
	ds_write_b128 v15, v[11:14] offset:18
.LBB0_15:
	s_or_b32 exec_lo, exec_lo, s1
	v_and_b32_e32 v4, 0xff, v0
	v_mov_b32_e32 v7, 10
	s_waitcnt lgkmcnt(0)
	s_barrier
	buffer_gl0_inv
	v_mul_lo_u16 v4, 0xf1, v4
	v_mov_b32_e32 v21, 1
	v_cmp_gt_u32_e64 s0, 0x55, v0
	v_lshrrev_b16 v4, 12, v4
	v_mul_lo_u16 v5, v4, 17
	v_and_b32_e32 v10, 0xffff, v4
	v_sub_nc_u16 v5, v0, v5
	v_mad_u32_u24 v10, 0x176, v10, 0
	v_mul_u32_u24_sdwa v7, v5, v7 dst_sel:DWORD dst_unused:UNUSED_PAD src0_sel:BYTE_0 src1_sel:DWORD
	v_lshlrev_b32_sdwa v5, v21, v5 dst_sel:DWORD dst_unused:UNUSED_PAD src0_sel:DWORD src1_sel:BYTE_0
	v_lshlrev_b32_e32 v7, 2, v7
	v_add3_u32 v1, v10, v5, v1
	s_clause 0x2
	global_load_dwordx4 v[11:14], v7, s[8:9]
	global_load_dwordx4 v[17:20], v7, s[8:9] offset:16
	global_load_dwordx2 v[7:8], v7, s[8:9] offset:32
	ds_read_u16 v9, v22 offset:204
	ds_read_u16 v15, v22 offset:408
	ds_read_u16 v16, v22 offset:612
	ds_read_u16 v44, v22 offset:816
	ds_read_u16 v4, v23
	ds_read_u16 v45, v22 offset:1020
	ds_read_u16 v46, v22 offset:1224
	ds_read_u16 v21, v22 offset:1428
	ds_read_u16 v47, v22 offset:1632
	ds_read_u16 v48, v22 offset:1836
	ds_read_u16 v49, v22 offset:2040
	s_waitcnt vmcnt(0) lgkmcnt(0)
	s_barrier
	buffer_gl0_inv
	v_mul_f16_sdwa v41, v9, v11 dst_sel:DWORD dst_unused:UNUSED_PAD src0_sel:DWORD src1_sel:WORD_1
	v_mul_f16_sdwa v50, v35, v11 dst_sel:DWORD dst_unused:UNUSED_PAD src0_sel:DWORD src1_sel:WORD_1
	v_mul_f16_sdwa v39, v15, v12 dst_sel:DWORD dst_unused:UNUSED_PAD src0_sel:DWORD src1_sel:WORD_1
	v_mul_f16_sdwa v38, v21, v19 dst_sel:DWORD dst_unused:UNUSED_PAD src0_sel:DWORD src1_sel:WORD_1
	v_mul_f16_sdwa v56, v29, v19 dst_sel:DWORD dst_unused:UNUSED_PAD src0_sel:DWORD src1_sel:WORD_1
	v_mul_f16_sdwa v40, v47, v20 dst_sel:DWORD dst_unused:UNUSED_PAD src0_sel:DWORD src1_sel:WORD_1
	v_mul_f16_sdwa v57, v27, v20 dst_sel:DWORD dst_unused:UNUSED_PAD src0_sel:DWORD src1_sel:WORD_1
	v_mul_f16_sdwa v42, v48, v7 dst_sel:DWORD dst_unused:UNUSED_PAD src0_sel:DWORD src1_sel:WORD_1
	v_mul_f16_sdwa v58, v26, v7 dst_sel:DWORD dst_unused:UNUSED_PAD src0_sel:DWORD src1_sel:WORD_1
	v_mul_f16_sdwa v59, v28, v8 dst_sel:DWORD dst_unused:UNUSED_PAD src0_sel:DWORD src1_sel:WORD_1
	v_fmac_f16_e32 v41, v35, v11
	v_mul_f16_sdwa v51, v34, v12 dst_sel:DWORD dst_unused:UNUSED_PAD src0_sel:DWORD src1_sel:WORD_1
	v_mul_f16_sdwa v37, v16, v13 dst_sel:DWORD dst_unused:UNUSED_PAD src0_sel:DWORD src1_sel:WORD_1
	;; [unrolled: 1-line block ×9, first 2 shown]
	v_fma_f16 v35, v9, v11, -v50
	v_fmac_f16_e32 v39, v34, v12
	v_fmac_f16_e32 v38, v29, v19
	v_fma_f16 v29, v21, v19, -v56
	v_fmac_f16_e32 v40, v27, v20
	v_fma_f16 v21, v47, v20, -v57
	v_fma_f16 v19, v49, v8, -v59
	v_fmac_f16_e32 v42, v26, v7
	v_fma_f16 v20, v48, v7, -v58
	v_add_f16_e32 v7, v25, v41
	v_mul_f16_sdwa v5, v45, v17 dst_sel:DWORD dst_unused:UNUSED_PAD src0_sel:DWORD src1_sel:WORD_1
	v_fma_f16 v34, v15, v12, -v51
	v_fmac_f16_e32 v37, v33, v13
	v_fma_f16 v33, v16, v13, -v52
	v_fmac_f16_e32 v36, v32, v14
	v_fma_f16 v32, v44, v14, -v53
	v_fma_f16 v11, v45, v17, -v54
	v_fmac_f16_e32 v10, v30, v18
	v_fma_f16 v18, v46, v18, -v55
	v_fmac_f16_e32 v43, v28, v8
	v_sub_f16_e32 v9, v35, v19
	v_add_f16_e32 v7, v7, v39
	v_fmac_f16_e32 v5, v31, v17
	v_sub_f16_e32 v13, v34, v20
	v_add_f16_e32 v8, v41, v43
	v_sub_f16_e32 v15, v33, v21
	v_sub_f16_e32 v17, v32, v29
	;; [unrolled: 1-line block ×3, first 2 shown]
	v_mul_f16_e32 v28, 0xbb47, v9
	v_pk_mul_f16 v46, 0xb853bbeb, v9 op_sel_hi:[1,0]
	v_pk_mul_f16 v9, 0xba0cb482, v9 op_sel_hi:[1,0]
	v_add_f16_e32 v7, v7, v37
	v_add_f16_e32 v12, v39, v42
	;; [unrolled: 1-line block ×5, first 2 shown]
	v_mul_f16_e32 v30, 0xba0c, v13
	v_mul_f16_e32 v31, 0x3482, v15
	;; [unrolled: 1-line block ×4, first 2 shown]
	v_pk_mul_f16 v47, 0xbb473482, v13 op_sel_hi:[1,0]
	v_pk_mul_f16 v48, 0xbbeb3b47, v15 op_sel_hi:[1,0]
	;; [unrolled: 1-line block ×8, first 2 shown]
	v_fmamk_f16 v51, v8, 0x36a6, v28
	v_fma_f16 v28, v8, 0x36a6, -v28
	v_pk_fma_f16 v56, 0x3abbb08e, v8, v46 op_sel_hi:[1,0,1]
	v_pk_fma_f16 v46, 0x3abbb08e, v8, v46 op_sel_hi:[1,0,1] neg_lo:[0,0,1] neg_hi:[0,0,1]
	v_pk_fma_f16 v61, 0xb93dbbad, v8, v9 op_sel_hi:[1,0,1]
	v_pk_fma_f16 v8, 0xb93dbbad, v8, v9 op_sel_hi:[1,0,1] neg_lo:[0,0,1] neg_hi:[0,0,1]
	v_add_f16_e32 v7, v7, v36
	v_fmamk_f16 v52, v12, 0xb93d, v30
	v_fma_f16 v30, v12, 0xb93d, -v30
	v_fmamk_f16 v53, v14, 0xbbad, v31
	v_fma_f16 v31, v14, 0xbbad, -v31
	v_fmamk_f16 v54, v16, 0xb08e, v44
	v_fma_f16 v44, v16, 0xb08e, -v44
	v_fmamk_f16 v55, v26, 0x3abb, v45
	v_fma_f16 v45, v26, 0x3abb, -v45
	v_pk_fma_f16 v57, 0x36a6bbad, v12, v47 op_sel_hi:[1,0,1]
	v_pk_fma_f16 v47, 0x36a6bbad, v12, v47 op_sel_hi:[1,0,1] neg_lo:[0,0,1] neg_hi:[0,0,1]
	v_pk_fma_f16 v58, 0xb08e36a6, v14, v48 op_sel_hi:[1,0,1]
	v_pk_fma_f16 v48, 0xb08e36a6, v14, v48 op_sel_hi:[1,0,1] neg_lo:[0,0,1] neg_hi:[0,0,1]
	;; [unrolled: 2-line block ×8, first 2 shown]
	v_add_f16_e32 v27, v25, v51
	v_add_f16_e32 v28, v25, v28
	v_add_f16_sdwa v51, v25, v56 dst_sel:DWORD dst_unused:UNUSED_PAD src0_sel:DWORD src1_sel:WORD_1
	v_add_f16_e32 v56, v25, v56
	v_pk_add_f16 v46, v25, v46 op_sel_hi:[0,1]
	v_pk_add_f16 v8, v25, v8 op_sel_hi:[0,1]
	v_add_f16_e32 v7, v7, v5
	v_add_f16_sdwa v62, v25, v61 dst_sel:DWORD dst_unused:UNUSED_PAD src0_sel:DWORD src1_sel:WORD_1
	v_add_f16_e32 v61, v25, v61
	v_add_f16_e32 v25, v52, v27
	;; [unrolled: 1-line block ×3, first 2 shown]
	v_add_f16_sdwa v28, v57, v51 dst_sel:DWORD dst_unused:UNUSED_PAD src0_sel:WORD_1 src1_sel:DWORD
	v_add_f16_e32 v30, v57, v56
	v_pk_add_f16 v46, v47, v46
	v_pk_add_f16 v8, v12, v8
	v_add_f16_e32 v7, v7, v10
	v_add_f16_sdwa v47, v9, v62 dst_sel:DWORD dst_unused:UNUSED_PAD src0_sel:WORD_1 src1_sel:DWORD
	v_add_f16_e32 v9, v9, v61
	v_add_f16_e32 v12, v53, v25
	v_add_f16_e32 v25, v31, v27
	v_add_f16_sdwa v27, v58, v28 dst_sel:DWORD dst_unused:UNUSED_PAD src0_sel:WORD_1 src1_sel:DWORD
	v_add_f16_e32 v28, v58, v30
	v_pk_add_f16 v30, v48, v46
	v_pk_add_f16 v8, v14, v8
	v_add_f16_e32 v7, v7, v38
	v_add_f16_sdwa v31, v13, v47 dst_sel:DWORD dst_unused:UNUSED_PAD src0_sel:WORD_1 src1_sel:DWORD
	v_add_f16_e32 v9, v13, v9
	v_add_f16_e32 v13, v44, v25
	v_add_f16_sdwa v14, v59, v27 dst_sel:DWORD dst_unused:UNUSED_PAD src0_sel:WORD_1 src1_sel:DWORD
	v_pk_add_f16 v27, v49, v30
	v_pk_add_f16 v16, v16, v8
	v_add_f16_e32 v30, v7, v40
	v_add_f16_e32 v12, v54, v12
	;; [unrolled: 1-line block ×3, first 2 shown]
	v_add_f16_sdwa v28, v15, v31 dst_sel:DWORD dst_unused:UNUSED_PAD src0_sel:WORD_1 src1_sel:DWORD
	v_add_f16_e32 v15, v15, v9
	v_add_f16_e32 v9, v45, v13
	v_add_f16_sdwa v13, v60, v14 dst_sel:DWORD dst_unused:UNUSED_PAD src0_sel:WORD_1 src1_sel:DWORD
	v_pk_add_f16 v7, v26, v16
	v_add_f16_e32 v16, v30, v42
	v_add_f16_e32 v12, v55, v12
	;; [unrolled: 1-line block ×3, first 2 shown]
	v_pk_add_f16 v8, v50, v27
	v_add_f16_sdwa v25, v17, v28 dst_sel:DWORD dst_unused:UNUSED_PAD src0_sel:WORD_1 src1_sel:DWORD
	v_add_f16_e32 v15, v17, v15
	ds_write_b16 v1, v13 offset:34
	ds_write_b16 v1, v12 offset:68
	ds_write_b16 v1, v14 offset:102
	ds_write_b16 v1, v25 offset:136
	ds_write_b16 v1, v15 offset:170
	ds_write_b16 v1, v7 offset:204
	v_add_f16_e32 v12, v16, v43
	ds_write_b16_d16_hi v1, v7 offset:238
	ds_write_b16 v1, v8 offset:272
	ds_write_b16 v1, v9 offset:306
	ds_write_b16_d16_hi v1, v8 offset:340
	ds_write_b16 v1, v12
	s_waitcnt lgkmcnt(0)
	s_barrier
	buffer_gl0_inv
	ds_read_u16 v12, v23
	ds_read_u16 v13, v22 offset:374
	ds_read_u16 v16, v22 offset:748
	;; [unrolled: 1-line block ×5, first 2 shown]
	s_and_saveexec_b32 s1, s0
	s_cbranch_execz .LBB0_17
; %bb.16:
	ds_read_u16 v7, v22 offset:204
	ds_read_u16 v8, v22 offset:952
	;; [unrolled: 1-line block ×3, first 2 shown]
	s_waitcnt lgkmcnt(2)
	ds_read_u16_d16_hi v7, v22 offset:578
	ds_read_u16 v9, v22 offset:1326
	s_waitcnt lgkmcnt(3)
	ds_read_u16_d16_hi v8, v22 offset:1700
.LBB0_17:
	s_or_b32 exec_lo, exec_lo, s1
	v_add_f16_e32 v25, v4, v35
	v_add_f16_e32 v26, v35, v19
	v_sub_f16_e32 v27, v41, v43
	v_add_f16_e32 v28, v34, v20
	v_add_f16_e32 v31, v33, v21
	;; [unrolled: 1-line block ×3, first 2 shown]
	v_sub_f16_e32 v30, v39, v42
	v_sub_f16_e32 v34, v37, v40
	v_mul_f16_e32 v37, 0xb08e, v28
	v_add_f16_e32 v35, v32, v29
	v_add_f16_e32 v25, v25, v33
	v_mul_f16_e32 v33, 0xb93d, v26
	v_sub_f16_e32 v36, v36, v38
	v_mul_f16_e32 v38, 0x3abb, v31
	v_fmamk_f16 v43, v30, 0xbbeb, v37
	v_add_f16_e32 v25, v25, v32
	v_fmamk_f16 v42, v27, 0x3a0c, v33
	v_fmac_f16_e32 v33, 0xba0c, v27
	v_mul_f16_e32 v39, 0xbbad, v35
	v_pk_mul_f16 v32, 0xb08e36a6, v26 op_sel_hi:[1,0]
	v_add_f16_e32 v25, v25, v11
	v_add_f16_e32 v42, v4, v42
	v_fmac_f16_e32 v37, 0x3beb, v30
	v_fmamk_f16 v44, v34, 0x3853, v38
	v_add_f16_e32 v33, v4, v33
	v_add_f16_e32 v25, v25, v18
	v_add_f16_e32 v42, v43, v42
	v_pk_mul_f16 v40, 0xbbadb93d, v28 op_sel_hi:[1,0]
	v_fmamk_f16 v38, v34, 0xb853, v38
	v_fmamk_f16 v45, v36, 0x3482, v39
	v_add_f16_e32 v25, v25, v29
	v_pk_fma_f16 v29, 0xbbebbb47, v27, v32 op_sel_hi:[1,0,1] neg_lo:[0,1,0] neg_hi:[0,1,0]
	v_pk_fma_f16 v32, 0xbbebbb47, v27, v32 op_sel_hi:[1,0,1]
	v_add_f16_e32 v33, v37, v33
	v_add_f16_e32 v37, v44, v42
	;; [unrolled: 1-line block ×3, first 2 shown]
	v_pk_mul_f16 v41, 0x36a6bbad, v31 op_sel_hi:[1,0]
	v_pk_fma_f16 v25, 0x3482ba0c, v30, v40 op_sel_hi:[1,0,1] neg_lo:[0,1,0] neg_hi:[0,1,0]
	v_add_f16_e32 v43, v4, v29
	v_add_f16_e32 v18, v11, v18
	;; [unrolled: 1-line block ×3, first 2 shown]
	v_add_f16_sdwa v21, v4, v29 dst_sel:DWORD dst_unused:UNUSED_PAD src0_sel:DWORD src1_sel:WORD_1
	v_pk_add_f16 v29, v4, v32 op_sel_hi:[0,1]
	v_add_f16_e32 v32, v38, v33
	v_add_f16_e32 v33, v45, v37
	v_pk_fma_f16 v37, 0x3482ba0c, v30, v40 op_sel_hi:[1,0,1]
	v_add_f16_e32 v19, v20, v19
	v_add_f16_e32 v20, v25, v43
	v_pk_mul_f16 v11, 0x3abbb08e, v35 op_sel_hi:[1,0]
	v_add_f16_sdwa v21, v25, v21 dst_sel:DWORD dst_unused:UNUSED_PAD src0_sel:WORD_1 src1_sel:DWORD
	v_pk_add_f16 v25, v37, v29
	v_pk_fma_f16 v29, 0x3b473482, v34, v41 op_sel_hi:[1,0,1]
	v_sub_f16_e32 v5, v5, v10
	v_pk_fma_f16 v37, 0xb8533beb, v36, v11 op_sel_hi:[1,0,1] neg_lo:[0,1,0] neg_hi:[0,1,0]
	v_pk_mul_f16 v10, 0xb93d3abb, v18 op_sel_hi:[1,0]
	v_pk_fma_f16 v11, 0xb8533beb, v36, v11 op_sel_hi:[1,0,1]
	v_pk_add_f16 v25, v29, v25
	v_pk_mul_f16 v26, 0x3abbbbad, v26 op_sel_hi:[1,0]
	v_pk_fma_f16 v38, 0x3b473482, v34, v41 op_sel_hi:[1,0,1] neg_lo:[0,1,0] neg_hi:[0,1,0]
	v_pk_fma_f16 v29, 0xba0c3853, v5, v10 op_sel_hi:[1,0,1] neg_lo:[0,1,0] neg_hi:[0,1,0]
	v_pk_fma_f16 v10, 0xba0c3853, v5, v10 op_sel_hi:[1,0,1]
	v_pk_add_f16 v11, v11, v25
	v_pk_fma_f16 v25, 0xb853b482, v27, v26 op_sel_hi:[1,0,1] neg_lo:[0,1,0] neg_hi:[0,1,0]
	v_pk_mul_f16 v28, 0x36a63abb, v28 op_sel_hi:[1,0]
	v_pk_fma_f16 v26, 0xb853b482, v27, v26 op_sel_hi:[1,0,1]
	v_add_f16_e32 v20, v38, v20
	v_add_f16_sdwa v21, v38, v21 dst_sel:DWORD dst_unused:UNUSED_PAD src0_sel:WORD_1 src1_sel:DWORD
	v_pk_add_f16 v11, v10, v11
	v_add_f16_sdwa v10, v4, v25 dst_sel:DWORD dst_unused:UNUSED_PAD src0_sel:DWORD src1_sel:WORD_1
	v_add_f16_e32 v25, v4, v25
	v_pk_fma_f16 v27, 0xbb473853, v30, v28 op_sel_hi:[1,0,1] neg_lo:[0,1,0] neg_hi:[0,1,0]
	v_pk_add_f16 v4, v4, v26 op_sel_hi:[0,1]
	v_pk_mul_f16 v26, 0xb08eb93d, v31 op_sel_hi:[1,0]
	v_pk_fma_f16 v28, 0xbb473853, v30, v28 op_sel_hi:[1,0,1]
	v_add_f16_e32 v20, v37, v20
	v_add_f16_sdwa v21, v37, v21 dst_sel:DWORD dst_unused:UNUSED_PAD src0_sel:WORD_1 src1_sel:DWORD
	v_add_f16_sdwa v10, v27, v10 dst_sel:DWORD dst_unused:UNUSED_PAD src0_sel:WORD_1 src1_sel:DWORD
	v_add_f16_e32 v25, v27, v25
	v_pk_fma_f16 v27, 0xbbebba0c, v34, v26 op_sel_hi:[1,0,1] neg_lo:[0,1,0] neg_hi:[0,1,0]
	v_pk_add_f16 v4, v28, v4
	v_pk_mul_f16 v28, 0xb93d36a6, v35 op_sel_hi:[1,0]
	v_pk_fma_f16 v26, 0xbbebba0c, v34, v26 op_sel_hi:[1,0,1]
	v_fmamk_f16 v39, v36, 0xb482, v39
	v_add_f16_e32 v20, v29, v20
	v_add_f16_sdwa v21, v29, v21 dst_sel:DWORD dst_unused:UNUSED_PAD src0_sel:WORD_1 src1_sel:DWORD
	v_mul_f16_e32 v29, 0x36a6, v18
	v_add_f16_sdwa v10, v27, v10 dst_sel:DWORD dst_unused:UNUSED_PAD src0_sel:WORD_1 src1_sel:DWORD
	v_add_f16_e32 v25, v27, v25
	v_pk_fma_f16 v27, 0xba0c3b47, v36, v28 op_sel_hi:[1,0,1] neg_lo:[0,1,0] neg_hi:[0,1,0]
	v_pk_mul_f16 v18, 0xbbadb08e, v18 op_sel_hi:[1,0]
	v_pk_add_f16 v4, v26, v4
	v_pk_fma_f16 v26, 0xba0c3b47, v36, v28 op_sel_hi:[1,0,1]
	v_add_f16_e32 v32, v39, v32
	v_fmamk_f16 v28, v5, 0x3b47, v29
	v_add_f16_sdwa v10, v27, v10 dst_sel:DWORD dst_unused:UNUSED_PAD src0_sel:WORD_1 src1_sel:DWORD
	v_add_f16_e32 v25, v27, v25
	v_pk_fma_f16 v27, 0xb482bbeb, v5, v18 op_sel_hi:[1,0,1] neg_lo:[0,1,0] neg_hi:[0,1,0]
	v_fmamk_f16 v30, v5, 0xbb47, v29
	v_pk_add_f16 v4, v26, v4
	v_pk_fma_f16 v5, 0xb482bbeb, v5, v18 op_sel_hi:[1,0,1]
	v_add_f16_e32 v18, v28, v32
	v_add_f16_sdwa v28, v27, v10 dst_sel:DWORD dst_unused:UNUSED_PAD src0_sel:WORD_1 src1_sel:DWORD
	v_add_f16_e32 v25, v27, v25
	v_add_f16_e32 v26, v30, v33
	v_pk_add_f16 v10, v5, v4
	s_waitcnt lgkmcnt(0)
	s_barrier
	buffer_gl0_inv
	ds_write_b16 v1, v19
	ds_write_b16 v1, v28 offset:34
	ds_write_b16 v1, v20 offset:68
	;; [unrolled: 1-line block ×4, first 2 shown]
	v_lshrrev_b32_e32 v19, 16, v11
	v_lshrrev_b32_e32 v20, 16, v10
	ds_write_b16 v1, v25 offset:170
	ds_write_b16 v1, v10 offset:204
	;; [unrolled: 1-line block ×6, first 2 shown]
	s_waitcnt lgkmcnt(0)
	s_barrier
	buffer_gl0_inv
	ds_read_u16 v23, v23
	ds_read_u16 v25, v22 offset:374
	ds_read_u16 v28, v22 offset:748
	;; [unrolled: 1-line block ×5, first 2 shown]
	v_lshrrev_b32_e32 v21, 16, v24
	s_and_saveexec_b32 s1, s0
	s_cbranch_execz .LBB0_19
; %bb.18:
	ds_read_u16 v10, v22 offset:204
	ds_read_u16 v18, v22 offset:578
	;; [unrolled: 1-line block ×6, first 2 shown]
.LBB0_19:
	s_or_b32 exec_lo, exec_lo, s1
	s_and_saveexec_b32 s1, vcc_lo
	s_cbranch_execz .LBB0_22
; %bb.20:
	v_mul_u32_u24_e32 v1, 5, v0
	v_add_co_u32 v2, vcc_lo, s2, v2
	v_add_co_ci_u32_e32 v3, vcc_lo, s3, v3, vcc_lo
	v_lshlrev_b32_e32 v1, 2, v1
	s_clause 0x1
	global_load_dwordx4 v[30:33], v1, s[8:9] offset:680
	global_load_dword v22, v1, s[8:9] offset:696
	v_mov_b32_e32 v1, 0
	v_lshlrev_b64 v[4:5], 2, v[0:1]
	v_add_co_u32 v2, vcc_lo, v2, v4
	v_add_co_ci_u32_e32 v3, vcc_lo, v3, v5, vcc_lo
	v_add_co_u32 v4, vcc_lo, 0x800, v2
	v_add_co_ci_u32_e32 v5, vcc_lo, 0, v3, vcc_lo
	s_waitcnt vmcnt(1)
	v_lshrrev_b32_e32 v34, 16, v32
	s_waitcnt vmcnt(0)
	v_lshrrev_b32_e32 v41, 16, v22
	v_lshrrev_b32_e32 v24, 16, v30
	v_mul_f16_sdwa v35, v16, v31 dst_sel:DWORD dst_unused:UNUSED_PAD src0_sel:DWORD src1_sel:WORD_1
	v_mul_f16_sdwa v36, v17, v33 dst_sel:DWORD dst_unused:UNUSED_PAD src0_sel:DWORD src1_sel:WORD_1
	v_mul_f16_e32 v40, v14, v32
	v_mul_f16_e32 v42, v15, v22
	;; [unrolled: 1-line block ×4, first 2 shown]
	s_waitcnt lgkmcnt(3)
	v_mul_f16_sdwa v37, v28, v31 dst_sel:DWORD dst_unused:UNUSED_PAD src0_sel:DWORD src1_sel:WORD_1
	s_waitcnt lgkmcnt(1)
	v_mul_f16_sdwa v38, v29, v33 dst_sel:DWORD dst_unused:UNUSED_PAD src0_sel:DWORD src1_sel:WORD_1
	v_mul_f16_e32 v39, v13, v30
	v_fma_f16 v28, v28, v31, -v35
	v_fma_f16 v29, v29, v33, -v36
	v_fmac_f16_e32 v40, v26, v34
	s_waitcnt lgkmcnt(0)
	v_fmac_f16_e32 v42, v27, v41
	v_mul_f16_e32 v13, v13, v24
	v_fma_f16 v14, v26, v32, -v14
	v_fma_f16 v15, v27, v22, -v15
	v_fmac_f16_e32 v37, v16, v31
	v_fmac_f16_e32 v38, v17, v33
	v_fmac_f16_e32 v39, v25, v24
	v_add_f16_e32 v16, v28, v29
	v_add_f16_e32 v24, v40, v42
	v_fma_f16 v13, v25, v30, -v13
	v_add_f16_e32 v31, v14, v15
	v_sub_f16_e32 v22, v40, v42
	v_add_f16_e32 v25, v23, v28
	v_add_f16_e32 v26, v37, v38
	v_sub_f16_e32 v27, v28, v29
	v_add_f16_e32 v28, v12, v37
	v_add_f16_e32 v30, v39, v40
	v_fma_f16 v16, -0.5, v16, v23
	v_fma_f16 v23, -0.5, v24, v39
	v_sub_f16_e32 v24, v14, v15
	v_add_f16_e32 v14, v13, v14
	v_fma_f16 v13, -0.5, v31, v13
	v_fma_f16 v12, -0.5, v26, v12
	v_add_f16_e32 v26, v28, v38
	v_add_f16_e32 v28, v30, v42
	v_fmamk_f16 v30, v24, 0x3aee, v23
	v_fmac_f16_e32 v23, 0xbaee, v24
	v_fmamk_f16 v24, v22, 0xbaee, v13
	v_fmac_f16_e32 v13, 0x3aee, v22
	v_sub_f16_e32 v17, v37, v38
	v_add_f16_e32 v25, v25, v29
	v_add_f16_e32 v14, v14, v15
	v_fmamk_f16 v15, v27, 0x3aee, v12
	v_fmac_f16_e32 v12, 0xbaee, v27
	v_mul_f16_e32 v27, 0.5, v13
	v_mul_f16_e32 v13, 0xbaee, v13
	v_fmamk_f16 v29, v17, 0xbaee, v16
	v_fmac_f16_e32 v16, 0x3aee, v17
	v_sub_f16_e32 v17, v26, v28
	v_add_f16_e32 v22, v26, v28
	v_sub_f16_e32 v26, v25, v14
	v_add_f16_e32 v14, v25, v14
	v_mul_f16_e32 v25, -0.5, v24
	v_mul_f16_e32 v24, 0xbaee, v24
	v_fmac_f16_e32 v27, 0x3aee, v23
	v_fmac_f16_e32 v13, 0.5, v23
	v_pack_b32_f16 v14, v22, v14
	v_fmac_f16_e32 v25, 0x3aee, v30
	v_fmac_f16_e32 v24, -0.5, v30
	v_pack_b32_f16 v17, v17, v26
	v_sub_f16_e32 v23, v16, v27
	v_add_f16_e32 v16, v16, v27
	v_add_f16_e32 v26, v12, v13
	v_sub_f16_e32 v22, v29, v25
	v_add_f16_e32 v25, v29, v25
	v_add_f16_e32 v27, v15, v24
	v_sub_f16_e32 v12, v12, v13
	v_sub_f16_e32 v13, v15, v24
	global_store_dword v[2:3], v14, off
	v_pack_b32_f16 v14, v26, v16
	v_pack_b32_f16 v15, v27, v25
	;; [unrolled: 1-line block ×4, first 2 shown]
	global_store_dword v[4:5], v17, off offset:196
	global_store_dword v[2:3], v14, off offset:748
	;; [unrolled: 1-line block ×5, first 2 shown]
	s_and_b32 exec_lo, exec_lo, s0
	s_cbranch_execz .LBB0_22
; %bb.21:
	v_mov_b32_e32 v12, 0x66
	v_lshrrev_b32_e32 v17, 16, v7
	v_lshrrev_b32_e32 v22, 16, v8
	v_cndmask_b32_e64 v12, 0xffffffab, v12, s0
	v_add_nc_u32_e32 v0, v0, v12
	v_mul_i32_i24_e32 v0, 5, v0
	v_lshlrev_b64 v[0:1], 2, v[0:1]
	v_add_co_u32 v0, vcc_lo, s8, v0
	v_add_co_ci_u32_e32 v1, vcc_lo, s9, v1, vcc_lo
	s_clause 0x1
	global_load_dwordx4 v[12:15], v[0:1], off offset:680
	global_load_dword v16, v[0:1], off offset:696
	v_add_co_u32 v0, vcc_lo, 0x1000, v2
	v_add_co_ci_u32_e32 v1, vcc_lo, 0, v3, vcc_lo
	s_waitcnt vmcnt(1)
	v_mul_f16_sdwa v23, v18, v12 dst_sel:DWORD dst_unused:UNUSED_PAD src0_sel:DWORD src1_sel:WORD_1
	v_mul_f16_sdwa v24, v17, v12 dst_sel:DWORD dst_unused:UNUSED_PAD src0_sel:DWORD src1_sel:WORD_1
	;; [unrolled: 1-line block ×4, first 2 shown]
	s_waitcnt vmcnt(0)
	v_mul_f16_sdwa v31, v21, v16 dst_sel:DWORD dst_unused:UNUSED_PAD src0_sel:DWORD src1_sel:WORD_1
	v_mul_f16_sdwa v32, v6, v16 dst_sel:DWORD dst_unused:UNUSED_PAD src0_sel:DWORD src1_sel:WORD_1
	;; [unrolled: 1-line block ×6, first 2 shown]
	v_fmac_f16_e32 v23, v17, v12
	v_fma_f16 v12, v18, v12, -v24
	v_fmac_f16_e32 v27, v9, v14
	v_fma_f16 v9, v11, v14, -v28
	;; [unrolled: 2-line block ×5, first 2 shown]
	v_sub_f16_e32 v20, v9, v6
	v_add_f16_e32 v21, v12, v9
	v_add_f16_e32 v9, v9, v6
	;; [unrolled: 1-line block ×5, first 2 shown]
	v_sub_f16_e32 v22, v27, v31
	v_fmac_f16_e32 v12, -0.5, v9
	v_add_f16_e32 v13, v7, v25
	v_sub_f16_e32 v15, v8, v11
	v_add_f16_e32 v8, v8, v11
	v_add_f16_e32 v18, v23, v27
	v_fmac_f16_e32 v7, -0.5, v14
	v_add_f16_e32 v11, v16, v11
	v_fmac_f16_e32 v23, -0.5, v19
	v_add_f16_e32 v6, v21, v6
	v_fmamk_f16 v16, v22, 0x3aee, v12
	v_sub_f16_e32 v17, v25, v29
	v_add_f16_e32 v13, v13, v29
	v_fmac_f16_e32 v10, -0.5, v8
	v_add_f16_e32 v8, v18, v31
	v_fmac_f16_e32 v12, 0xbaee, v22
	v_fmamk_f16 v9, v15, 0xbaee, v7
	v_fmac_f16_e32 v7, 0x3aee, v15
	v_fmamk_f16 v15, v20, 0xbaee, v23
	v_add_f16_e32 v18, v11, v6
	v_sub_f16_e32 v6, v11, v6
	v_mul_f16_e32 v11, 0xbaee, v16
	v_mul_f16_e32 v16, 0.5, v16
	v_fmamk_f16 v14, v17, 0x3aee, v10
	v_fmac_f16_e32 v10, 0xbaee, v17
	v_fmac_f16_e32 v23, 0x3aee, v20
	v_add_f16_e32 v17, v13, v8
	v_sub_f16_e32 v8, v13, v8
	v_mul_f16_e32 v13, 0xbaee, v12
	v_mul_f16_e32 v12, -0.5, v12
	v_fmac_f16_e32 v11, 0.5, v15
	v_fmac_f16_e32 v16, 0x3aee, v15
	v_pack_b32_f16 v17, v17, v18
	v_fmac_f16_e32 v13, -0.5, v23
	v_fmac_f16_e32 v12, 0x3aee, v23
	v_pack_b32_f16 v6, v8, v6
	v_add_f16_e32 v8, v9, v11
	v_add_f16_e32 v18, v14, v16
	v_add_f16_e32 v15, v7, v13
	v_add_f16_e32 v19, v10, v12
	v_sub_f16_e32 v9, v9, v11
	v_sub_f16_e32 v11, v14, v16
	;; [unrolled: 1-line block ×4, first 2 shown]
	v_pack_b32_f16 v8, v8, v18
	v_pack_b32_f16 v12, v15, v19
	;; [unrolled: 1-line block ×3, first 2 shown]
	global_store_dword v[2:3], v17, off offset:408
	v_pack_b32_f16 v7, v7, v10
	global_store_dword v[4:5], v6, off offset:604
	global_store_dword v[2:3], v8, off offset:1156
	global_store_dword v[2:3], v12, off offset:1904
	global_store_dword v[4:5], v9, off offset:1352
	global_store_dword v[0:1], v7, off offset:52
.LBB0_22:
	s_endpgm
	.section	.rodata,"a",@progbits
	.p2align	6, 0x0
	.amdhsa_kernel fft_rtc_back_len1122_factors_17_11_6_wgs_204_tpt_102_halfLds_half_ip_CI_unitstride_sbrr_dirReg
		.amdhsa_group_segment_fixed_size 0
		.amdhsa_private_segment_fixed_size 0
		.amdhsa_kernarg_size 88
		.amdhsa_user_sgpr_count 6
		.amdhsa_user_sgpr_private_segment_buffer 1
		.amdhsa_user_sgpr_dispatch_ptr 0
		.amdhsa_user_sgpr_queue_ptr 0
		.amdhsa_user_sgpr_kernarg_segment_ptr 1
		.amdhsa_user_sgpr_dispatch_id 0
		.amdhsa_user_sgpr_flat_scratch_init 0
		.amdhsa_user_sgpr_private_segment_size 0
		.amdhsa_wavefront_size32 1
		.amdhsa_uses_dynamic_stack 0
		.amdhsa_system_sgpr_private_segment_wavefront_offset 0
		.amdhsa_system_sgpr_workgroup_id_x 1
		.amdhsa_system_sgpr_workgroup_id_y 0
		.amdhsa_system_sgpr_workgroup_id_z 0
		.amdhsa_system_sgpr_workgroup_info 0
		.amdhsa_system_vgpr_workitem_id 0
		.amdhsa_next_free_vgpr 94
		.amdhsa_next_free_sgpr 21
		.amdhsa_reserve_vcc 1
		.amdhsa_reserve_flat_scratch 0
		.amdhsa_float_round_mode_32 0
		.amdhsa_float_round_mode_16_64 0
		.amdhsa_float_denorm_mode_32 3
		.amdhsa_float_denorm_mode_16_64 3
		.amdhsa_dx10_clamp 1
		.amdhsa_ieee_mode 1
		.amdhsa_fp16_overflow 0
		.amdhsa_workgroup_processor_mode 1
		.amdhsa_memory_ordered 1
		.amdhsa_forward_progress 0
		.amdhsa_shared_vgpr_count 0
		.amdhsa_exception_fp_ieee_invalid_op 0
		.amdhsa_exception_fp_denorm_src 0
		.amdhsa_exception_fp_ieee_div_zero 0
		.amdhsa_exception_fp_ieee_overflow 0
		.amdhsa_exception_fp_ieee_underflow 0
		.amdhsa_exception_fp_ieee_inexact 0
		.amdhsa_exception_int_div_zero 0
	.end_amdhsa_kernel
	.text
.Lfunc_end0:
	.size	fft_rtc_back_len1122_factors_17_11_6_wgs_204_tpt_102_halfLds_half_ip_CI_unitstride_sbrr_dirReg, .Lfunc_end0-fft_rtc_back_len1122_factors_17_11_6_wgs_204_tpt_102_halfLds_half_ip_CI_unitstride_sbrr_dirReg
                                        ; -- End function
	.section	.AMDGPU.csdata,"",@progbits
; Kernel info:
; codeLenInByte = 10196
; NumSgprs: 23
; NumVgprs: 94
; ScratchSize: 0
; MemoryBound: 0
; FloatMode: 240
; IeeeMode: 1
; LDSByteSize: 0 bytes/workgroup (compile time only)
; SGPRBlocks: 2
; VGPRBlocks: 11
; NumSGPRsForWavesPerEU: 23
; NumVGPRsForWavesPerEU: 94
; Occupancy: 10
; WaveLimiterHint : 1
; COMPUTE_PGM_RSRC2:SCRATCH_EN: 0
; COMPUTE_PGM_RSRC2:USER_SGPR: 6
; COMPUTE_PGM_RSRC2:TRAP_HANDLER: 0
; COMPUTE_PGM_RSRC2:TGID_X_EN: 1
; COMPUTE_PGM_RSRC2:TGID_Y_EN: 0
; COMPUTE_PGM_RSRC2:TGID_Z_EN: 0
; COMPUTE_PGM_RSRC2:TIDIG_COMP_CNT: 0
	.text
	.p2alignl 6, 3214868480
	.fill 48, 4, 3214868480
	.type	__hip_cuid_8ca8e2cd73b98470,@object ; @__hip_cuid_8ca8e2cd73b98470
	.section	.bss,"aw",@nobits
	.globl	__hip_cuid_8ca8e2cd73b98470
__hip_cuid_8ca8e2cd73b98470:
	.byte	0                               ; 0x0
	.size	__hip_cuid_8ca8e2cd73b98470, 1

	.ident	"AMD clang version 19.0.0git (https://github.com/RadeonOpenCompute/llvm-project roc-6.4.0 25133 c7fe45cf4b819c5991fe208aaa96edf142730f1d)"
	.section	".note.GNU-stack","",@progbits
	.addrsig
	.addrsig_sym __hip_cuid_8ca8e2cd73b98470
	.amdgpu_metadata
---
amdhsa.kernels:
  - .args:
      - .actual_access:  read_only
        .address_space:  global
        .offset:         0
        .size:           8
        .value_kind:     global_buffer
      - .offset:         8
        .size:           8
        .value_kind:     by_value
      - .actual_access:  read_only
        .address_space:  global
        .offset:         16
        .size:           8
        .value_kind:     global_buffer
      - .actual_access:  read_only
        .address_space:  global
        .offset:         24
        .size:           8
        .value_kind:     global_buffer
      - .offset:         32
        .size:           8
        .value_kind:     by_value
      - .actual_access:  read_only
        .address_space:  global
        .offset:         40
        .size:           8
        .value_kind:     global_buffer
      - .actual_access:  read_only
        .address_space:  global
        .offset:         48
        .size:           8
        .value_kind:     global_buffer
      - .offset:         56
        .size:           4
        .value_kind:     by_value
      - .actual_access:  read_only
        .address_space:  global
        .offset:         64
        .size:           8
        .value_kind:     global_buffer
      - .actual_access:  read_only
        .address_space:  global
        .offset:         72
        .size:           8
        .value_kind:     global_buffer
      - .address_space:  global
        .offset:         80
        .size:           8
        .value_kind:     global_buffer
    .group_segment_fixed_size: 0
    .kernarg_segment_align: 8
    .kernarg_segment_size: 88
    .language:       OpenCL C
    .language_version:
      - 2
      - 0
    .max_flat_workgroup_size: 204
    .name:           fft_rtc_back_len1122_factors_17_11_6_wgs_204_tpt_102_halfLds_half_ip_CI_unitstride_sbrr_dirReg
    .private_segment_fixed_size: 0
    .sgpr_count:     23
    .sgpr_spill_count: 0
    .symbol:         fft_rtc_back_len1122_factors_17_11_6_wgs_204_tpt_102_halfLds_half_ip_CI_unitstride_sbrr_dirReg.kd
    .uniform_work_group_size: 1
    .uses_dynamic_stack: false
    .vgpr_count:     94
    .vgpr_spill_count: 0
    .wavefront_size: 32
    .workgroup_processor_mode: 1
amdhsa.target:   amdgcn-amd-amdhsa--gfx1030
amdhsa.version:
  - 1
  - 2
...

	.end_amdgpu_metadata
